;; amdgpu-corpus repo=zjin-lcf/HeCBench kind=compiled arch=gfx1250 opt=O3
	.amdgcn_target "amdgcn-amd-amdhsa--gfx1250"
	.amdhsa_code_object_version 6
	.section	.text._Z4adamIffEvPT_S1_S1_PKT0_fffffim10adamMode_tf,"axG",@progbits,_Z4adamIffEvPT_S1_S1_PKT0_fffffim10adamMode_tf,comdat
	.protected	_Z4adamIffEvPT_S1_S1_PKT0_fffffim10adamMode_tf ; -- Begin function _Z4adamIffEvPT_S1_S1_PKT0_fffffim10adamMode_tf
	.globl	_Z4adamIffEvPT_S1_S1_PKT0_fffffim10adamMode_tf
	.p2align	8
	.type	_Z4adamIffEvPT_S1_S1_PKT0_fffffim10adamMode_tf,@function
_Z4adamIffEvPT_S1_S1_PKT0_fffffim10adamMode_tf: ; @_Z4adamIffEvPT_S1_S1_PKT0_fffffim10adamMode_tf
; %bb.0:
	s_clause 0x1
	s_load_b32 s4, s[0:1], 0x54
	s_load_b64 s[2:3], s[0:1], 0x38
	s_bfe_u32 s5, ttmp6, 0x4000c
	s_and_b32 s6, ttmp6, 15
	s_add_co_i32 s5, s5, 1
	s_getreg_b32 s7, hwreg(HW_REG_IB_STS2, 6, 4)
	s_mul_i32 s5, ttmp9, s5
	v_mov_b32_e32 v1, 0
	s_add_co_i32 s6, s6, s5
	s_mov_b32 s17, 0
	s_wait_kmcnt 0x0
	s_and_b32 s16, s4, 0xffff
	s_cmp_eq_u32 s7, 0
	s_cselect_b32 s4, ttmp9, s6
	s_delay_alu instid0(SALU_CYCLE_1) | instskip(SKIP_1) | instid1(VALU_DEP_1)
	v_mad_u32 v0, s4, s16, v0
	s_mov_b32 s4, exec_lo
	v_cmpx_gt_u64_e64 s[2:3], v[0:1]
	s_cbranch_execz .LBB0_11
; %bb.1:
	s_clause 0x1
	s_load_b64 s[18:19], s[0:1], 0x30
	s_load_b256 s[4:11], s[0:1], 0x10
	s_add_nc_u64 s[22:23], s[0:1], 0x48
	s_load_b64 s[20:21], s[0:1], 0x40
	s_load_b32 s29, s[22:23], 0x0
	s_load_b128 s[12:15], s[0:1], 0x0
	s_mov_b32 s24, 0x3e76c4e1
	s_wait_kmcnt 0x0
	s_cmp_gt_i32 s19, 0
	s_sub_f32 s25, 1.0, s8
	s_cselect_b32 s1, -1, 0
	s_cmp_eq_f32 s8, 1.0
	s_sub_f32 s26, 1.0, s9
	s_mov_b32 s22, s9
	s_mov_b32 s23, s8
	s_cselect_b32 s27, -1, 0
	s_cmp_eq_f32 s9, 1.0
	s_mul_i32 s16, s29, s16
	s_mov_b32 s29, s17
	s_cselect_b32 s28, -1, 0
	s_cmp_lg_u32 s20, 0
	s_cselect_b32 s20, -1, 0
	s_branch .LBB0_4
.LBB0_2:                                ;   in Loop: Header=BB0_4 Depth=1
	global_store_b32 v[2:3], v9, off
	global_store_b32 v[4:5], v8, off
	;; [unrolled: 1-line block ×3, first 2 shown]
.LBB0_3:                                ;   in Loop: Header=BB0_4 Depth=1
	v_add_nc_u64_e32 v[0:1], s[16:17], v[0:1]
	s_delay_alu instid0(VALU_DEP_1)
	v_cmp_le_u64_e32 vcc_lo, s[2:3], v[0:1]
	s_or_b32 s29, vcc_lo, s29
	s_wait_xcnt 0x0
	s_and_not1_b32 exec_lo, exec_lo, s29
	s_cbranch_execz .LBB0_11
.LBB0_4:                                ; =>This Loop Header: Depth=1
                                        ;     Child Loop BB0_7 Depth 2
	s_and_not1_b32 vcc_lo, exec_lo, s1
	s_cbranch_vccnz .LBB0_3
; %bb.5:                                ;   in Loop: Header=BB0_4 Depth=1
	v_lshlrev_b64_e32 v[6:7], 2, v[0:1]
	s_mov_b32 s30, 0
	s_delay_alu instid0(VALU_DEP_1)
	v_add_nc_u64_e32 v[2:3], s[6:7], v[6:7]
	v_add_nc_u64_e32 v[4:5], s[4:5], v[6:7]
	global_load_b32 v10, v[2:3], off
	s_wait_xcnt 0x0
	v_add_nc_u64_e32 v[2:3], s[14:15], v[6:7]
	v_add_nc_u64_e32 v[6:7], s[12:13], v[6:7]
	global_load_b32 v9, v[2:3], off
	global_load_b32 v8, v[4:5], off
	;; [unrolled: 1-line block ×3, first 2 shown]
	s_wait_loadcnt 0x3
	v_div_scale_f32 v11, null, s11, s11, v10
	v_div_scale_f32 v15, vcc_lo, v10, s11, v10
	s_delay_alu instid0(VALU_DEP_2) | instskip(SKIP_1) | instid1(TRANS32_DEP_1)
	v_rcp_f32_e32 v13, v11
	v_nop
	v_fma_f32 v14, -v11, v13, 1.0
	s_delay_alu instid0(VALU_DEP_1) | instskip(NEXT) | instid1(VALU_DEP_1)
	v_fmac_f32_e32 v13, v14, v13
	v_mul_f32_e32 v14, v15, v13
	s_delay_alu instid0(VALU_DEP_1) | instskip(NEXT) | instid1(VALU_DEP_1)
	v_fma_f32 v16, -v11, v14, v15
	v_fmac_f32_e32 v14, v16, v13
	s_delay_alu instid0(VALU_DEP_1) | instskip(NEXT) | instid1(VALU_DEP_1)
	v_dual_fma_f32 v11, -v11, v14, v15 :: v_dual_mov_b32 v15, s25
	v_div_fmas_f32 v11, v11, v13, v14
	s_delay_alu instid0(VALU_DEP_1) | instskip(NEXT) | instid1(VALU_DEP_1)
	v_div_fixup_f32 v10, v11, s11, v10
	v_mul_f32_e32 v14, s26, v10
	s_delay_alu instid0(VALU_DEP_1)
	v_pk_mul_f32 v[10:11], v[14:15], v[10:11] op_sel_hi:[1,0]
	s_branch .LBB0_7
.LBB0_6:                                ;   in Loop: Header=BB0_7 Depth=2
	s_and_b32 s0, s27, exec_lo
	s_cselect_b32 s31, 1.0, s31
	s_delay_alu instid0(SALU_CYCLE_1) | instskip(SKIP_1) | instid1(SALU_CYCLE_1)
	s_cmp_neq_f32 s31, 0
	s_cselect_b32 s0, s8, 1.0
	v_cvt_f64_f32_e64 v[14:15], |s0|
	s_delay_alu instid0(VALU_DEP_1) | instskip(SKIP_1) | instid1(VALU_DEP_1)
	v_frexp_exp_i32_f64_e32 v14, v[14:15]
	v_frexp_mant_f32_e64 v15, |s0|
	v_readfirstlane_b32 s33, v15
	s_cmp_lt_f32 s33, 0x3f2aaaab
	s_cselect_b32 vcc_lo, -1, 0
	s_delay_alu instid0(SALU_CYCLE_1) | instskip(SKIP_1) | instid1(SALU_CYCLE_1)
	s_and_b32 s34, vcc_lo, exec_lo
	s_cselect_b32 s34, 2.0, 1.0
	s_mul_f32 s33, s33, s34
	s_delay_alu instid0(SALU_CYCLE_3) | instskip(SKIP_1) | instid1(SALU_CYCLE_2)
	s_add_f32 s34, s33, 1.0
	s_add_f32 s36, s33, -1.0
	v_s_rcp_f32 s35, s34
	s_add_f32 s39, s34, -1.0
	v_subrev_co_ci_u32_e64 v24, null, 0, v14, vcc_lo
	s_delay_alu instid0(SALU_CYCLE_2) | instskip(NEXT) | instid1(TRANS32_DEP_1)
	s_sub_f32 s33, s33, s39
	s_mul_f32 s37, s36, s35
	s_delay_alu instid0(SALU_CYCLE_3) | instskip(NEXT) | instid1(SALU_CYCLE_3)
	s_mul_f32 s38, s34, s37
	v_dual_mov_b32 v15, s36 :: v_dual_mov_b32 v16, s38
	s_xor_b32 s40, s38, 0x80000000
	s_delay_alu instid0(SALU_CYCLE_1) | instskip(NEXT) | instid1(SALU_CYCLE_3)
	s_fmac_f32 s40, s37, s34
	s_fmac_f32 s40, s37, s33
	s_delay_alu instid0(SALU_CYCLE_3) | instskip(NEXT) | instid1(SALU_CYCLE_3)
	s_add_f32 s33, s38, s40
	v_dual_mov_b32 v18, s40 :: v_dual_mov_b32 v19, s33
	s_sub_f32 s34, s36, s33
	s_delay_alu instid0(SALU_CYCLE_3) | instskip(NEXT) | instid1(VALU_DEP_1)
	v_dual_mov_b32 v14, s33 :: v_dual_mov_b32 v17, s34
	v_pk_add_f32 v[14:15], v[14:15], v[16:17] neg_lo:[0,1] neg_hi:[0,1]
	s_delay_alu instid0(VALU_DEP_1) | instskip(NEXT) | instid1(VALU_DEP_1)
	v_pk_add_f32 v[14:15], v[14:15], v[18:19] neg_lo:[0,1] neg_hi:[0,1]
	v_readfirstlane_b32 s33, v15
	s_delay_alu instid0(VALU_DEP_2) | instskip(SKIP_1) | instid1(SALU_CYCLE_3)
	v_readfirstlane_b32 s36, v14
	s_add_f32 s33, s36, s33
	s_add_f32 s33, s34, s33
	s_delay_alu instid0(SALU_CYCLE_3) | instskip(NEXT) | instid1(SALU_CYCLE_3)
	s_mul_f32 s33, s35, s33
	s_add_f32 s34, s37, s33
	s_delay_alu instid0(SALU_CYCLE_3) | instskip(SKIP_1) | instid1(SALU_CYCLE_2)
	s_sub_f32 s35, s34, s37
	s_mul_f32 s37, s34, s34
	s_sub_f32 s33, s33, s35
	s_delay_alu instid0(SALU_CYCLE_2) | instskip(NEXT) | instid1(SALU_CYCLE_1)
	s_xor_b32 s35, s37, 0x80000000
	s_fmac_f32 s35, s34, s34
	s_delay_alu instid0(SALU_CYCLE_1) | instskip(NEXT) | instid1(SALU_CYCLE_3)
	s_add_f32 s36, s33, s33
	s_fmac_f32 s35, s34, s36
	s_delay_alu instid0(SALU_CYCLE_3) | instskip(NEXT) | instid1(SALU_CYCLE_3)
	s_add_f32 s36, s37, s35
	s_fmaak_f32 s38, s36, s24, 0x3e91f4c4
	s_sub_f32 s37, s36, s37
	s_delay_alu instid0(SALU_CYCLE_2) | instskip(NEXT) | instid1(SALU_CYCLE_2)
	s_fmaak_f32 s38, s36, s38, 0x3ecccdef
	s_sub_f32 s41, s35, s37
	s_delay_alu instid0(SALU_CYCLE_2) | instskip(NEXT) | instid1(SALU_CYCLE_3)
	s_mul_f32 s39, s36, s38
	s_xor_b32 s40, s39, 0x80000000
	s_delay_alu instid0(SALU_CYCLE_1) | instskip(NEXT) | instid1(SALU_CYCLE_3)
	s_fmac_f32 s40, s36, s38
	s_fmac_f32 s40, s41, s38
	s_delay_alu instid0(SALU_CYCLE_3) | instskip(NEXT) | instid1(SALU_CYCLE_3)
	s_add_f32 s37, s39, s40
	s_sub_f32 s35, s37, s39
	s_add_f32 s38, s37, 0x3f2aaaaa
	s_delay_alu instid0(SALU_CYCLE_2) | instskip(NEXT) | instid1(SALU_CYCLE_2)
	s_sub_f32 s35, s40, s35
	s_add_f32 s39, s38, 0xbf2aaaaa
	s_delay_alu instid0(SALU_CYCLE_2) | instskip(NEXT) | instid1(SALU_CYCLE_2)
	s_add_f32 s35, s35, 0x31739010
	s_sub_f32 s37, s37, s39
	s_delay_alu instid0(SALU_CYCLE_2) | instskip(NEXT) | instid1(SALU_CYCLE_2)
	v_mov_b64_e32 v[14:15], s[34:35]
	v_mov_b64_e32 v[16:17], s[36:37]
	s_delay_alu instid0(VALU_DEP_1) | instskip(SKIP_2) | instid1(VALU_DEP_3)
	v_pk_mul_f32 v[18:19], v[14:15], v[16:17]
	v_pk_add_f32 v[14:15], v[14:15], v[16:17]
	v_mov_b32_e32 v21, s38
	v_xor_b32_e32 v20, 0x80000000, v18
	s_delay_alu instid0(VALU_DEP_3) | instskip(NEXT) | instid1(VALU_DEP_2)
	v_mov_b32_e32 v19, v15
	v_fmac_f32_e64 v20, s36, s34
	s_delay_alu instid0(VALU_DEP_1) | instskip(NEXT) | instid1(VALU_DEP_1)
	v_fmac_f32_e64 v20, s36, s33
	v_fmac_f32_e64 v20, s41, s34
	s_delay_alu instid0(VALU_DEP_1) | instskip(SKIP_1) | instid1(VALU_DEP_2)
	v_pk_add_f32 v[16:17], v[18:19], v[20:21]
	v_cvt_f32_i32_e32 v19, v24
	v_dual_mov_b32 v14, v17 :: v_dual_sub_f32 v21, s38, v17
	s_delay_alu instid0(VALU_DEP_2) | instskip(NEXT) | instid1(VALU_DEP_2)
	v_mul_f32_e32 v24, 0x3f317218, v19
	v_pk_mul_f32 v[22:23], v[16:17], v[14:15]
	v_sub_f32_e32 v23, v16, v18
	s_delay_alu instid0(VALU_DEP_3) | instskip(SKIP_1) | instid1(VALU_DEP_4)
	v_xor_b32_e32 v18, 0x80000000, v24
	v_add_f32_e32 v15, v15, v21
	v_xor_b32_e32 v14, 0x80000000, v22
	s_delay_alu instid0(VALU_DEP_4) | instskip(NEXT) | instid1(VALU_DEP_4)
	v_sub_f32_e32 v20, v20, v23
	v_fmac_f32_e32 v18, 0x3f317218, v19
	s_delay_alu instid0(VALU_DEP_1) | instskip(SKIP_1) | instid1(VALU_DEP_1)
	v_fmac_f32_e32 v18, 0xb102e308, v19
	v_ldexp_f32 v19, s34, 1
	v_dual_fmac_f32 v14, v16, v17 :: v_dual_mov_b32 v23, v19
	s_delay_alu instid0(VALU_DEP_1) | instskip(NEXT) | instid1(VALU_DEP_1)
	v_fmac_f32_e32 v14, v16, v15
	v_fmac_f32_e32 v14, v20, v17
	s_delay_alu instid0(VALU_DEP_1) | instskip(NEXT) | instid1(VALU_DEP_1)
	v_add_f32_e32 v25, v22, v14
	v_mov_b32_e32 v15, v25
	v_pk_add_f32 v[16:17], v[24:25], v[18:19]
	v_mov_b32_e32 v20, v25
	v_ldexp_f32 v19, s33, 1
	s_delay_alu instid0(VALU_DEP_3) | instskip(NEXT) | instid1(VALU_DEP_1)
	v_dual_mov_b32 v21, v17 :: v_dual_mov_b32 v26, v17
	v_pk_add_f32 v[20:21], v[20:21], v[22:23] neg_lo:[0,1] neg_hi:[0,1]
	s_delay_alu instid0(VALU_DEP_1) | instskip(NEXT) | instid1(VALU_DEP_1)
	v_pk_add_f32 v[14:15], v[14:15], v[20:21] neg_lo:[0,1] neg_hi:[0,1]
	v_dual_add_f32 v14, v19, v14 :: v_dual_mov_b32 v19, v16
	s_delay_alu instid0(VALU_DEP_1) | instskip(NEXT) | instid1(VALU_DEP_1)
	v_add_f32_e32 v25, v14, v15
	v_pk_add_f32 v[14:15], v[16:17], v[24:25]
	v_pk_add_f32 v[20:21], v[16:17], v[24:25] neg_lo:[0,1] neg_hi:[0,1]
	s_delay_alu instid0(VALU_DEP_2) | instskip(NEXT) | instid1(VALU_DEP_1)
	v_mov_b32_e32 v21, v15
	v_pk_add_f32 v[22:23], v[18:19], v[20:21]
	v_pk_add_f32 v[18:19], v[18:19], v[20:21] neg_lo:[0,1] neg_hi:[0,1]
	s_delay_alu instid0(VALU_DEP_2) | instskip(SKIP_1) | instid1(VALU_DEP_3)
	v_dual_mov_b32 v28, v15 :: v_dual_mov_b32 v29, v23
	v_mov_b32_e32 v24, v23
	v_readfirstlane_b32 s33, v18
	s_delay_alu instid0(VALU_DEP_2) | instskip(SKIP_1) | instid1(VALU_DEP_2)
	v_pk_add_f32 v[20:21], v[24:25], v[16:17] neg_lo:[0,1] neg_hi:[0,1]
	v_dual_mov_b32 v17, v16 :: v_dual_mov_b32 v16, v25
	v_dual_mov_b32 v22, s33 :: v_dual_mov_b32 v27, v20
	v_mov_b32_e32 v19, v20
	s_delay_alu instid0(VALU_DEP_2) | instskip(NEXT) | instid1(VALU_DEP_2)
	v_pk_add_f32 v[20:21], v[28:29], v[26:27] neg_lo:[0,1] neg_hi:[0,1]
	v_pk_add_f32 v[14:15], v[14:15], v[18:19] neg_lo:[0,1] neg_hi:[0,1]
	v_mov_b32_e32 v14, s33
	s_delay_alu instid0(VALU_DEP_3) | instskip(NEXT) | instid1(VALU_DEP_1)
	v_pk_add_f32 v[16:17], v[16:17], v[20:21] neg_lo:[0,1] neg_hi:[0,1]
	v_pk_add_f32 v[14:15], v[14:15], v[16:17]
	s_delay_alu instid0(VALU_DEP_1) | instskip(NEXT) | instid1(VALU_DEP_2)
	v_readfirstlane_b32 s34, v14
	v_mov_b32_e32 v18, v15
	s_delay_alu instid0(VALU_DEP_1) | instskip(NEXT) | instid1(VALU_DEP_3)
	v_pk_add_f32 v[18:19], v[14:15], v[18:19]
	v_mov_b32_e32 v14, s34
	s_delay_alu instid0(VALU_DEP_2) | instskip(SKIP_1) | instid1(VALU_DEP_2)
	v_pk_add_f32 v[20:21], v[24:25], v[18:19]
	v_mov_b32_e32 v17, v18
	v_readfirstlane_b32 s35, v20
	s_delay_alu instid0(VALU_DEP_1) | instskip(NEXT) | instid1(VALU_DEP_1)
	v_mov_b32_e32 v15, s35
	v_pk_add_f32 v[14:15], v[14:15], v[22:23] neg_lo:[0,1] neg_hi:[0,1]
	s_delay_alu instid0(VALU_DEP_1) | instskip(NEXT) | instid1(VALU_DEP_2)
	v_readfirstlane_b32 s36, v14
	v_pk_add_f32 v[14:15], v[16:17], v[14:15] neg_lo:[0,1] neg_hi:[0,1]
	s_sub_f32 s34, s34, s36
	s_delay_alu instid0(VALU_DEP_1) | instskip(NEXT) | instid1(SALU_CYCLE_2)
	v_readfirstlane_b32 s36, v14
	s_sub_f32 s33, s33, s34
	v_readfirstlane_b32 s34, v15
	s_delay_alu instid0(SALU_CYCLE_2) | instskip(NEXT) | instid1(SALU_CYCLE_3)
	s_add_f32 s33, s36, s33
	s_add_f32 s33, s33, s34
	s_delay_alu instid0(SALU_CYCLE_3) | instskip(NEXT) | instid1(SALU_CYCLE_3)
	s_add_f32 s34, s35, s33
	s_mul_f32 s36, s31, s34
	s_sub_f32 s35, s34, s35
	s_delay_alu instid0(SALU_CYCLE_2) | instskip(NEXT) | instid1(SALU_CYCLE_2)
	s_xor_b32 s37, s36, 0x80000000
	s_sub_f32 s33, s33, s35
	s_fmac_f32 s37, s31, s34
	s_delay_alu instid0(SALU_CYCLE_3) | instskip(SKIP_1) | instid1(SALU_CYCLE_2)
	s_fmac_f32 s37, s31, s33
	v_cmp_class_f32_e64 s33, s36, 0x204
	s_add_f32 s34, s36, s37
	s_and_b32 s33, s33, exec_lo
	s_delay_alu instid0(SALU_CYCLE_2) | instskip(SKIP_1) | instid1(SALU_CYCLE_1)
	s_sub_f32 s33, s34, s36
	s_cselect_b32 s34, s36, s34
	s_and_b32 s35, s34, 0x7fffffff
	s_delay_alu instid0(SALU_CYCLE_1) | instskip(SKIP_1) | instid1(SALU_CYCLE_2)
	s_sub_f32 s33, s37, s33
	s_cmp_neq_f32 s35, 0x7f800000
	s_cselect_b32 s33, s33, 0
	s_cmp_eq_f32 s34, 0x42b17218
	s_cselect_b32 s35, 0x37000000, 0
	s_delay_alu instid0(SALU_CYCLE_1) | instskip(SKIP_1) | instid1(SALU_CYCLE_2)
	s_sub_f32 s34, s34, s35
	s_add_f32 s33, s35, s33
	s_mul_f32 s36, s34, 0x3fb8aa3b
	s_delay_alu instid0(SALU_CYCLE_3) | instskip(SKIP_3) | instid1(SALU_CYCLE_1)
	s_xor_b32 s37, s36, 0x80000000
	s_rndne_f32 s38, s36
	s_fmamk_f32 s37, s34, 0x3fb8aa3b, s37
	s_cmp_nlt_f32 s34, 0xc2ce8ed0
	s_sub_f32 s36, s36, s38
	s_delay_alu instid0(SALU_CYCLE_1)
	s_fmamk_f32 s37, s34, 0x32a5705f, s37
	s_cselect_b32 vcc_lo, -1, 0
	s_cmp_ngt_f32 s34, 0x42b17218
	s_trunc_f32 s34, s31
	s_add_f32 s36, s36, s37
	s_cvt_i32_f32 s37, s38
	s_delay_alu instid0(SALU_CYCLE_2)
	v_s_exp_f32 s36, s36
	v_nop
	s_delay_alu instid0(TRANS32_DEP_1) | instid1(SALU_CYCLE_1)
	v_ldexp_f32 v14, s36, s37
	s_mul_f32 s36, s31, 0.5
	s_delay_alu instid0(VALU_DEP_1) | instskip(SKIP_3) | instid1(VALU_DEP_1)
	v_cndmask_b32_e32 v14, 0, v14, vcc_lo
	s_cselect_b32 vcc_lo, -1, 0
	s_cmp_eq_f32 s34, s31
	s_trunc_f32 s37, s36
	v_cndmask_b32_e32 v14, 0x7f800000, v14, vcc_lo
	s_cselect_b32 s38, -1, 0
	s_delay_alu instid0(SALU_CYCLE_1) | instskip(NEXT) | instid1(VALU_DEP_1)
	s_cmp_neq_f32 s37, s36
	v_fma_f32 v15, s33, v14, v14
	v_cmp_class_f32_e64 vcc_lo, v14, 0x204
	s_cselect_b32 s35, -1, 0
	s_delay_alu instid0(SALU_CYCLE_1)
	s_and_b32 s33, s38, s35
	v_cndmask_b32_e32 v14, v15, v14, vcc_lo
	s_and_b32 s35, s33, exec_lo
	s_cselect_b32 s35, s0, 1.0
	s_cmp_eq_f32 s34, s31
	v_cmp_class_f32_e64 s31, s0, 0x204
	v_bfi_b32 v14, 0x7fffffff, v14, s35
	s_cselect_b32 vcc_lo, -1, 0
	s_cmp_lt_f32 s0, 0
	s_delay_alu instid0(VALU_DEP_1) | instskip(SKIP_2) | instid1(VALU_DEP_1)
	v_cndmask_b32_e32 v15, 0x7fc00000, v14, vcc_lo
	s_cselect_b32 vcc_lo, -1, 0
	s_cmp_eq_f32 s0, 0
	v_cndmask_b32_e32 v14, v14, v15, vcc_lo
	s_cselect_b32 s34, -1, 0
	s_delay_alu instid0(SALU_CYCLE_1)
	s_and_b32 s35, s34, exec_lo
	s_cselect_b32 s35, 0, 0x7f800000
	s_or_b32 vcc_lo, s34, s31
	s_and_b32 s31, s33, exec_lo
	s_cselect_b32 s31, s0, 0
	s_cmp_o_f32 s0, s0
	v_mov_b32_e32 v15, s31
	s_delay_alu instid0(VALU_DEP_1) | instskip(NEXT) | instid1(VALU_DEP_1)
	v_bfi_b32 v15, 0x7fffffff, s35, v15
	v_cndmask_b32_e32 v14, v14, v15, vcc_lo
	s_cselect_b32 vcc_lo, -1, 0
	s_cmp_eq_u32 s19, s30
	s_delay_alu instid0(VALU_DEP_1) | instskip(NEXT) | instid1(VALU_DEP_1)
	v_sub_f32_e32 v14, 1.0, v14
	v_cndmask_b32_e32 v14, 0x7fc00000, v14, vcc_lo
	s_delay_alu instid0(VALU_DEP_1) | instskip(SKIP_1) | instid1(VALU_DEP_2)
	v_div_scale_f32 v15, null, v14, v14, v9
	v_div_scale_f32 v18, vcc_lo, v9, v14, v9
	v_rcp_f32_e32 v16, v15
	v_nop
	s_delay_alu instid0(TRANS32_DEP_1) | instskip(NEXT) | instid1(VALU_DEP_1)
	v_fma_f32 v17, -v15, v16, 1.0
	v_fmac_f32_e32 v16, v17, v16
	s_delay_alu instid0(VALU_DEP_1) | instskip(NEXT) | instid1(VALU_DEP_1)
	v_mul_f32_e32 v17, v18, v16
	v_fma_f32 v19, -v15, v17, v18
	s_delay_alu instid0(VALU_DEP_1) | instskip(NEXT) | instid1(VALU_DEP_1)
	v_fmac_f32_e32 v17, v19, v16
	v_fma_f32 v15, -v15, v17, v18
	s_delay_alu instid0(VALU_DEP_1) | instskip(NEXT) | instid1(VALU_DEP_1)
	v_div_fmas_f32 v15, v15, v16, v17
	v_div_fixup_f32 v14, v15, v14, v9
	s_delay_alu instid0(VALU_DEP_1) | instskip(NEXT) | instid1(VALU_DEP_1)
	v_div_scale_f32 v15, null, v13, v13, v14
	v_rcp_f32_e32 v16, v15
	v_nop
	s_delay_alu instid0(TRANS32_DEP_1) | instskip(NEXT) | instid1(VALU_DEP_1)
	v_fma_f32 v17, -v15, v16, 1.0
	v_fmac_f32_e32 v16, v17, v16
	v_div_scale_f32 v17, vcc_lo, v14, v13, v14
	s_delay_alu instid0(VALU_DEP_1) | instskip(NEXT) | instid1(VALU_DEP_1)
	v_mul_f32_e32 v18, v17, v16
	v_fma_f32 v19, -v15, v18, v17
	s_delay_alu instid0(VALU_DEP_1) | instskip(NEXT) | instid1(VALU_DEP_1)
	v_fmac_f32_e32 v18, v19, v16
	v_fma_f32 v15, -v15, v18, v17
	s_delay_alu instid0(VALU_DEP_1) | instskip(NEXT) | instid1(VALU_DEP_1)
	v_div_fmas_f32 v15, v15, v16, v18
	v_div_fixup_f32 v13, v15, v13, v14
	s_delay_alu instid0(VALU_DEP_1) | instskip(NEXT) | instid1(VALU_DEP_1)
	v_fmac_f32_e32 v13, s21, v12
	v_fma_f32 v12, -s18, v13, v12
	s_cbranch_scc1 .LBB0_2
.LBB0_7:                                ;   Parent Loop BB0_4 Depth=1
                                        ; =>  This Inner Loop Header: Depth=2
	s_add_co_i32 s30, s30, 1
	s_and_b32 s0, s28, exec_lo
	s_cvt_f32_u32 s31, s30
	s_delay_alu instid0(SALU_CYCLE_3) | instskip(NEXT) | instid1(SALU_CYCLE_1)
	s_cselect_b32 s33, 1.0, s31
	s_cmp_neq_f32 s33, 0
	s_cselect_b32 s0, s9, 1.0
	s_delay_alu instid0(SALU_CYCLE_1) | instskip(NEXT) | instid1(VALU_DEP_1)
	v_cvt_f64_f32_e64 v[14:15], |s0|
	v_frexp_exp_i32_f64_e32 v13, v[14:15]
	v_frexp_mant_f32_e64 v14, |s0|
	s_delay_alu instid0(VALU_DEP_1) | instskip(SKIP_2) | instid1(SALU_CYCLE_1)
	v_readfirstlane_b32 s34, v14
	s_cmp_lt_f32 s34, 0x3f2aaaab
	s_cselect_b32 vcc_lo, -1, 0
	s_and_b32 s35, vcc_lo, exec_lo
	s_cselect_b32 s35, 2.0, 1.0
	s_delay_alu instid0(SALU_CYCLE_1) | instskip(NEXT) | instid1(SALU_CYCLE_3)
	s_mul_f32 s34, s34, s35
	s_add_f32 s35, s34, 1.0
	s_add_f32 s37, s34, -1.0
	s_delay_alu instid0(SALU_CYCLE_2) | instskip(SKIP_2) | instid1(SALU_CYCLE_2)
	v_s_rcp_f32 s36, s35
	s_add_f32 s40, s35, -1.0
	v_subrev_co_ci_u32_e64 v13, null, 0, v13, vcc_lo
	s_sub_f32 s34, s34, s40
	s_delay_alu instid0(TRANS32_DEP_1) | instskip(SKIP_1) | instid1(SALU_CYCLE_2)
	s_mul_f32 s38, s37, s36
	v_cvt_f32_i32_e32 v13, v13
	s_mul_f32 s39, s35, s38
	s_delay_alu instid0(SALU_CYCLE_3) | instskip(SKIP_1) | instid1(SALU_CYCLE_1)
	v_dual_mov_b32 v15, s37 :: v_dual_mov_b32 v16, s39
	s_xor_b32 s41, s39, 0x80000000
	s_fmac_f32 s41, s38, s35
	s_delay_alu instid0(SALU_CYCLE_3) | instskip(NEXT) | instid1(SALU_CYCLE_3)
	s_fmac_f32 s41, s38, s34
	s_add_f32 s34, s39, s41
	s_delay_alu instid0(SALU_CYCLE_3) | instskip(SKIP_1) | instid1(SALU_CYCLE_3)
	v_dual_mov_b32 v18, s41 :: v_dual_mov_b32 v19, s34
	s_sub_f32 s35, s37, s34
	v_dual_mov_b32 v14, s34 :: v_dual_mov_b32 v17, s35
	s_delay_alu instid0(VALU_DEP_1) | instskip(NEXT) | instid1(VALU_DEP_1)
	v_pk_add_f32 v[14:15], v[14:15], v[16:17] neg_lo:[0,1] neg_hi:[0,1]
	v_pk_add_f32 v[14:15], v[14:15], v[18:19] neg_lo:[0,1] neg_hi:[0,1]
	s_delay_alu instid0(VALU_DEP_1) | instskip(NEXT) | instid1(VALU_DEP_2)
	v_readfirstlane_b32 s34, v15
	v_readfirstlane_b32 s37, v14
	s_add_f32 s34, s37, s34
	s_delay_alu instid0(SALU_CYCLE_3) | instskip(NEXT) | instid1(SALU_CYCLE_3)
	s_add_f32 s34, s35, s34
	s_mul_f32 s35, s36, s34
	s_delay_alu instid0(SALU_CYCLE_3) | instskip(NEXT) | instid1(SALU_CYCLE_3)
	s_add_f32 s34, s38, s35
	s_sub_f32 s36, s34, s38
	s_mul_f32 s37, s34, s34
	s_delay_alu instid0(SALU_CYCLE_2) | instskip(NEXT) | instid1(SALU_CYCLE_2)
	s_sub_f32 s38, s35, s36
	s_xor_b32 s35, s37, 0x80000000
	s_delay_alu instid0(SALU_CYCLE_1) | instskip(NEXT) | instid1(SALU_CYCLE_1)
	s_fmac_f32 s35, s34, s34
	s_add_f32 s36, s38, s38
	s_delay_alu instid0(SALU_CYCLE_3) | instskip(NEXT) | instid1(SALU_CYCLE_3)
	s_fmac_f32 s35, s34, s36
	s_add_f32 s36, s37, s35
	s_delay_alu instid0(SALU_CYCLE_3) | instskip(SKIP_1) | instid1(SALU_CYCLE_2)
	s_fmaak_f32 s39, s36, s24, 0x3e91f4c4
	s_sub_f32 s37, s36, s37
	s_fmaak_f32 s39, s36, s39, 0x3ecccdef
	s_delay_alu instid0(SALU_CYCLE_2) | instskip(NEXT) | instid1(SALU_CYCLE_2)
	s_sub_f32 s42, s35, s37
	s_mul_f32 s40, s36, s39
	s_delay_alu instid0(SALU_CYCLE_3) | instskip(NEXT) | instid1(SALU_CYCLE_1)
	s_xor_b32 s41, s40, 0x80000000
	s_fmac_f32 s41, s36, s39
	s_delay_alu instid0(SALU_CYCLE_3) | instskip(NEXT) | instid1(SALU_CYCLE_3)
	s_fmac_f32 s41, s42, s39
	s_add_f32 s37, s40, s41
	s_delay_alu instid0(SALU_CYCLE_3) | instskip(SKIP_1) | instid1(SALU_CYCLE_2)
	s_sub_f32 s35, s37, s40
	s_add_f32 s39, s37, 0x3f2aaaaa
	s_sub_f32 s35, s41, s35
	s_delay_alu instid0(SALU_CYCLE_2) | instskip(NEXT) | instid1(SALU_CYCLE_2)
	s_add_f32 s40, s39, 0xbf2aaaaa
	s_add_f32 s35, s35, 0x31739010
	s_delay_alu instid0(SALU_CYCLE_2) | instskip(NEXT) | instid1(SALU_CYCLE_2)
	s_sub_f32 s37, s37, s40
	v_mov_b64_e32 v[14:15], s[34:35]
	s_delay_alu instid0(SALU_CYCLE_2) | instskip(NEXT) | instid1(VALU_DEP_1)
	v_mov_b64_e32 v[16:17], s[36:37]
	v_pk_mul_f32 v[18:19], v[14:15], v[16:17]
	v_pk_add_f32 v[14:15], v[14:15], v[16:17]
	v_mov_b32_e32 v21, s39
	s_delay_alu instid0(VALU_DEP_3) | instskip(NEXT) | instid1(VALU_DEP_3)
	v_xor_b32_e32 v20, 0x80000000, v18
	v_mov_b32_e32 v19, v15
	s_delay_alu instid0(VALU_DEP_2) | instskip(NEXT) | instid1(VALU_DEP_1)
	v_fmac_f32_e64 v20, s36, s34
	v_fmac_f32_e64 v20, s36, s38
	s_delay_alu instid0(VALU_DEP_1) | instskip(NEXT) | instid1(VALU_DEP_1)
	v_fmac_f32_e64 v20, s42, s34
	v_pk_add_f32 v[16:17], v[18:19], v[20:21]
	s_delay_alu instid0(VALU_DEP_1) | instskip(NEXT) | instid1(VALU_DEP_2)
	v_dual_mul_f32 v24, 0x3f317218, v13 :: v_dual_sub_f32 v21, v16, v18
	v_dual_mov_b32 v14, v17 :: v_dual_sub_f32 v19, s39, v17
	s_delay_alu instid0(VALU_DEP_2) | instskip(NEXT) | instid1(VALU_DEP_2)
	v_xor_b32_e32 v18, 0x80000000, v24
	v_pk_mul_f32 v[22:23], v[16:17], v[14:15]
	s_delay_alu instid0(VALU_DEP_2) | instskip(NEXT) | instid1(VALU_DEP_2)
	v_fmac_f32_e32 v18, 0x3f317218, v13
	v_xor_b32_e32 v14, 0x80000000, v22
	v_dual_add_f32 v15, v15, v19 :: v_dual_sub_f32 v19, v20, v21
	s_delay_alu instid0(VALU_DEP_2) | instskip(NEXT) | instid1(VALU_DEP_1)
	v_fmac_f32_e32 v14, v16, v17
	v_fmac_f32_e32 v14, v16, v15
	s_delay_alu instid0(VALU_DEP_1) | instskip(SKIP_1) | instid1(VALU_DEP_2)
	v_fmac_f32_e32 v14, v19, v17
	v_ldexp_f32 v19, s34, 1
	v_dual_add_f32 v25, v22, v14 :: v_dual_fmac_f32 v18, 0xb102e308, v13
	s_delay_alu instid0(VALU_DEP_2) | instskip(SKIP_1) | instid1(VALU_DEP_3)
	v_mov_b32_e32 v23, v19
	v_ldexp_f32 v13, s38, 1
	v_mov_b32_e32 v15, v25
	s_delay_alu instid0(VALU_DEP_4) | instskip(NEXT) | instid1(VALU_DEP_1)
	v_pk_add_f32 v[16:17], v[24:25], v[18:19]
	v_dual_mov_b32 v20, v25 :: v_dual_mov_b32 v21, v17
	s_delay_alu instid0(VALU_DEP_2) | instskip(NEXT) | instid1(VALU_DEP_2)
	v_dual_mov_b32 v19, v16 :: v_dual_mov_b32 v26, v17
	v_pk_add_f32 v[20:21], v[20:21], v[22:23] neg_lo:[0,1] neg_hi:[0,1]
	s_delay_alu instid0(VALU_DEP_1) | instskip(NEXT) | instid1(VALU_DEP_1)
	v_pk_add_f32 v[14:15], v[14:15], v[20:21] neg_lo:[0,1] neg_hi:[0,1]
	v_add_f32_e32 v13, v13, v14
	s_delay_alu instid0(VALU_DEP_1) | instskip(NEXT) | instid1(VALU_DEP_1)
	v_add_f32_e32 v25, v13, v15
	v_pk_add_f32 v[14:15], v[16:17], v[24:25]
	v_pk_add_f32 v[20:21], v[16:17], v[24:25] neg_lo:[0,1] neg_hi:[0,1]
	s_delay_alu instid0(VALU_DEP_2) | instskip(NEXT) | instid1(VALU_DEP_1)
	v_mov_b32_e32 v21, v15
	v_pk_add_f32 v[22:23], v[18:19], v[20:21]
	v_pk_add_f32 v[18:19], v[18:19], v[20:21] neg_lo:[0,1] neg_hi:[0,1]
	s_delay_alu instid0(VALU_DEP_2) | instskip(SKIP_1) | instid1(VALU_DEP_3)
	v_dual_mov_b32 v28, v15 :: v_dual_mov_b32 v29, v23
	v_mov_b32_e32 v24, v23
	v_readfirstlane_b32 s34, v18
	s_delay_alu instid0(VALU_DEP_2) | instskip(SKIP_1) | instid1(VALU_DEP_2)
	v_pk_add_f32 v[20:21], v[24:25], v[16:17] neg_lo:[0,1] neg_hi:[0,1]
	v_dual_mov_b32 v17, v16 :: v_dual_mov_b32 v16, v25
	v_dual_mov_b32 v22, s34 :: v_dual_mov_b32 v27, v20
	v_mov_b32_e32 v13, v20
	s_delay_alu instid0(VALU_DEP_2) | instskip(SKIP_1) | instid1(VALU_DEP_2)
	v_pk_add_f32 v[18:19], v[28:29], v[26:27] neg_lo:[0,1] neg_hi:[0,1]
	s_wait_loadcnt 0x0
	v_pk_add_f32 v[14:15], v[14:15], v[12:13] neg_lo:[0,1] neg_hi:[0,1]
	v_mov_b32_e32 v14, s34
	s_delay_alu instid0(VALU_DEP_3) | instskip(NEXT) | instid1(VALU_DEP_1)
	v_pk_add_f32 v[16:17], v[16:17], v[18:19] neg_lo:[0,1] neg_hi:[0,1]
	v_pk_add_f32 v[14:15], v[14:15], v[16:17]
	s_delay_alu instid0(VALU_DEP_1) | instskip(NEXT) | instid1(VALU_DEP_2)
	v_readfirstlane_b32 s35, v14
	v_mov_b32_e32 v18, v15
	s_delay_alu instid0(VALU_DEP_1) | instskip(NEXT) | instid1(VALU_DEP_3)
	v_pk_add_f32 v[18:19], v[14:15], v[18:19]
	v_mov_b32_e32 v14, s35
	s_delay_alu instid0(VALU_DEP_2) | instskip(SKIP_1) | instid1(VALU_DEP_2)
	v_pk_add_f32 v[20:21], v[24:25], v[18:19]
	v_mov_b32_e32 v17, v18
	v_readfirstlane_b32 s36, v20
	s_delay_alu instid0(VALU_DEP_1) | instskip(NEXT) | instid1(VALU_DEP_1)
	v_mov_b32_e32 v15, s36
	v_pk_add_f32 v[14:15], v[14:15], v[22:23] neg_lo:[0,1] neg_hi:[0,1]
	s_delay_alu instid0(VALU_DEP_1) | instskip(NEXT) | instid1(VALU_DEP_2)
	v_readfirstlane_b32 s37, v14
	v_pk_add_f32 v[14:15], v[16:17], v[14:15] neg_lo:[0,1] neg_hi:[0,1]
	s_sub_f32 s35, s35, s37
	s_delay_alu instid0(VALU_DEP_1) | instskip(NEXT) | instid1(SALU_CYCLE_2)
	v_readfirstlane_b32 s37, v14
	s_sub_f32 s34, s34, s35
	v_readfirstlane_b32 s35, v15
	s_delay_alu instid0(SALU_CYCLE_2) | instskip(NEXT) | instid1(SALU_CYCLE_3)
	s_add_f32 s34, s37, s34
	s_add_f32 s34, s34, s35
	s_delay_alu instid0(SALU_CYCLE_3) | instskip(NEXT) | instid1(SALU_CYCLE_3)
	s_add_f32 s35, s36, s34
	s_mul_f32 s37, s33, s35
	s_sub_f32 s36, s35, s36
	s_delay_alu instid0(SALU_CYCLE_2) | instskip(NEXT) | instid1(SALU_CYCLE_2)
	s_xor_b32 s38, s37, 0x80000000
	s_sub_f32 s34, s34, s36
	s_fmac_f32 s38, s33, s35
	s_delay_alu instid0(SALU_CYCLE_3) | instskip(SKIP_1) | instid1(SALU_CYCLE_2)
	s_fmac_f32 s38, s33, s34
	v_cmp_class_f32_e64 s34, s37, 0x204
	s_add_f32 s35, s37, s38
	s_and_b32 s34, s34, exec_lo
	s_delay_alu instid0(SALU_CYCLE_2) | instskip(SKIP_1) | instid1(SALU_CYCLE_1)
	s_sub_f32 s34, s35, s37
	s_cselect_b32 s35, s37, s35
	s_and_b32 s36, s35, 0x7fffffff
	s_delay_alu instid0(SALU_CYCLE_1) | instskip(SKIP_1) | instid1(SALU_CYCLE_2)
	s_sub_f32 s34, s38, s34
	s_cmp_neq_f32 s36, 0x7f800000
	s_cselect_b32 s34, s34, 0
	s_cmp_eq_f32 s35, 0x42b17218
	s_cselect_b32 s36, 0x37000000, 0
	s_delay_alu instid0(SALU_CYCLE_1) | instskip(SKIP_1) | instid1(SALU_CYCLE_2)
	s_sub_f32 s35, s35, s36
	s_add_f32 s34, s36, s34
	s_mul_f32 s37, s35, 0x3fb8aa3b
	s_delay_alu instid0(SALU_CYCLE_3) | instskip(SKIP_3) | instid1(SALU_CYCLE_1)
	s_xor_b32 s38, s37, 0x80000000
	s_rndne_f32 s39, s37
	s_fmamk_f32 s38, s35, 0x3fb8aa3b, s38
	s_cmp_nlt_f32 s35, 0xc2ce8ed0
	s_sub_f32 s37, s37, s39
	s_delay_alu instid0(SALU_CYCLE_1)
	s_fmamk_f32 s38, s35, 0x32a5705f, s38
	s_cselect_b32 vcc_lo, -1, 0
	s_cmp_ngt_f32 s35, 0x42b17218
	s_trunc_f32 s35, s33
	s_add_f32 s37, s37, s38
	s_cvt_i32_f32 s38, s39
	s_delay_alu instid0(SALU_CYCLE_2)
	v_s_exp_f32 s37, s37
	v_nop
	s_delay_alu instid0(TRANS32_DEP_1) | instid1(SALU_CYCLE_1)
	v_ldexp_f32 v13, s37, s38
	s_mul_f32 s37, s33, 0.5
	s_delay_alu instid0(VALU_DEP_1) | instskip(SKIP_3) | instid1(VALU_DEP_1)
	v_cndmask_b32_e32 v13, 0, v13, vcc_lo
	s_cselect_b32 vcc_lo, -1, 0
	s_cmp_eq_f32 s35, s33
	s_trunc_f32 s38, s37
	v_cndmask_b32_e32 v13, 0x7f800000, v13, vcc_lo
	s_cselect_b32 s39, -1, 0
	s_delay_alu instid0(SALU_CYCLE_1) | instskip(NEXT) | instid1(VALU_DEP_1)
	s_cmp_neq_f32 s38, s37
	v_fma_f32 v14, s34, v13, v13
	v_cmp_class_f32_e64 vcc_lo, v13, 0x204
	s_cselect_b32 s36, -1, 0
	s_delay_alu instid0(SALU_CYCLE_1)
	s_and_b32 s34, s39, s36
	v_cndmask_b32_e32 v13, v14, v13, vcc_lo
	s_and_b32 s36, s34, exec_lo
	s_cselect_b32 s36, s0, 1.0
	s_cmp_eq_f32 s35, s33
	v_cmp_class_f32_e64 s33, s0, 0x204
	v_bfi_b32 v13, 0x7fffffff, v13, s36
	s_cselect_b32 vcc_lo, -1, 0
	s_cmp_lt_f32 s0, 0
	s_delay_alu instid0(VALU_DEP_1) | instskip(SKIP_2) | instid1(VALU_DEP_1)
	v_cndmask_b32_e32 v14, 0x7fc00000, v13, vcc_lo
	s_cselect_b32 vcc_lo, -1, 0
	s_cmp_eq_f32 s0, 0
	v_cndmask_b32_e32 v13, v13, v14, vcc_lo
	s_cselect_b32 s35, -1, 0
	s_delay_alu instid0(SALU_CYCLE_1)
	s_and_b32 s36, s35, exec_lo
	s_cselect_b32 s36, 0, 0x7f800000
	s_or_b32 vcc_lo, s35, s33
	s_and_b32 s33, s34, exec_lo
	s_cselect_b32 s33, s0, 0
	s_cmp_o_f32 s0, s0
	v_mov_b32_e32 v14, s33
	s_delay_alu instid0(VALU_DEP_1) | instskip(NEXT) | instid1(VALU_DEP_1)
	v_bfi_b32 v14, 0x7fffffff, s36, v14
	v_cndmask_b32_e32 v13, v13, v14, vcc_lo
	v_mov_b64_e32 v[14:15], s[22:23]
	s_cselect_b32 vcc_lo, -1, 0
	s_delay_alu instid0(VALU_DEP_2) | instskip(NEXT) | instid1(VALU_DEP_2)
	v_sub_f32_e32 v13, 1.0, v13
	v_pk_fma_f32 v[8:9], v[14:15], v[8:9], v[10:11]
	s_delay_alu instid0(VALU_DEP_2) | instskip(NEXT) | instid1(VALU_DEP_1)
	v_cndmask_b32_e32 v13, 0x7fc00000, v13, vcc_lo
	v_div_scale_f32 v14, null, v13, v13, v8
	v_div_scale_f32 v17, vcc_lo, v8, v13, v8
	s_delay_alu instid0(VALU_DEP_2) | instskip(SKIP_1) | instid1(TRANS32_DEP_1)
	v_rcp_f32_e32 v15, v14
	v_nop
	v_fma_f32 v16, -v14, v15, 1.0
	s_delay_alu instid0(VALU_DEP_1) | instskip(NEXT) | instid1(VALU_DEP_1)
	v_fmac_f32_e32 v15, v16, v15
	v_mul_f32_e32 v16, v17, v15
	s_delay_alu instid0(VALU_DEP_1) | instskip(NEXT) | instid1(VALU_DEP_1)
	v_fma_f32 v18, -v14, v16, v17
	v_fmac_f32_e32 v16, v18, v15
	s_delay_alu instid0(VALU_DEP_1) | instskip(NEXT) | instid1(VALU_DEP_1)
	v_fma_f32 v14, -v14, v16, v17
	v_div_fmas_f32 v14, v14, v15, v16
	s_and_b32 vcc_lo, exec_lo, s20
	s_delay_alu instid0(VALU_DEP_1)
	v_div_fixup_f32 v14, v14, v13, v8
	s_cbranch_vccz .LBB0_9
; %bb.8:                                ;   in Loop: Header=BB0_7 Depth=2
	s_delay_alu instid0(VALU_DEP_1) | instskip(SKIP_1) | instid1(VALU_DEP_2)
	v_mul_f32_e32 v13, 0x4f800000, v14
	v_cmp_gt_f32_e32 vcc_lo, 0xf800000, v14
	v_cndmask_b32_e32 v13, v14, v13, vcc_lo
	s_delay_alu instid0(VALU_DEP_1) | instskip(SKIP_1) | instid1(TRANS32_DEP_1)
	v_sqrt_f32_e32 v15, v13
	v_nop
	v_dual_add_nc_u32 v16, -1, v15 :: v_dual_add_nc_u32 v17, 1, v15
	s_delay_alu instid0(VALU_DEP_1) | instskip(NEXT) | instid1(VALU_DEP_1)
	v_dual_fma_f32 v18, -v16, v15, v13 :: v_dual_fma_f32 v19, -v17, v15, v13
	v_cmp_ge_f32_e64 s0, 0, v18
	s_delay_alu instid0(VALU_DEP_1) | instskip(NEXT) | instid1(VALU_DEP_3)
	v_cndmask_b32_e64 v15, v15, v16, s0
	v_cmp_lt_f32_e64 s0, 0, v19
	s_delay_alu instid0(VALU_DEP_1) | instskip(NEXT) | instid1(VALU_DEP_1)
	v_cndmask_b32_e64 v15, v15, v17, s0
	v_mul_f32_e32 v16, 0x37800000, v15
	s_delay_alu instid0(VALU_DEP_1) | instskip(SKIP_1) | instid1(VALU_DEP_2)
	v_cndmask_b32_e32 v15, v15, v16, vcc_lo
	v_cmp_class_f32_e64 vcc_lo, v13, 0x260
	v_cndmask_b32_e32 v13, v15, v13, vcc_lo
	s_delay_alu instid0(VALU_DEP_1)
	v_add_f32_e32 v13, s10, v13
	s_cbranch_execnz .LBB0_6
	s_branch .LBB0_10
.LBB0_9:                                ;   in Loop: Header=BB0_7 Depth=2
                                        ; implicit-def: $vgpr13
.LBB0_10:                               ;   in Loop: Header=BB0_7 Depth=2
	s_delay_alu instid0(VALU_DEP_1) | instskip(NEXT) | instid1(VALU_DEP_1)
	v_add_f32_e32 v13, s10, v14
	v_mul_f32_e32 v14, 0x4f800000, v13
	v_cmp_gt_f32_e32 vcc_lo, 0xf800000, v13
	s_delay_alu instid0(VALU_DEP_2) | instskip(NEXT) | instid1(VALU_DEP_1)
	v_cndmask_b32_e32 v13, v13, v14, vcc_lo
	v_sqrt_f32_e32 v14, v13
	v_nop
	s_delay_alu instid0(TRANS32_DEP_1) | instskip(NEXT) | instid1(VALU_DEP_1)
	v_dual_add_nc_u32 v15, -1, v14 :: v_dual_add_nc_u32 v16, 1, v14
	v_dual_fma_f32 v17, -v15, v14, v13 :: v_dual_fma_f32 v18, -v16, v14, v13
	s_delay_alu instid0(VALU_DEP_1) | instskip(NEXT) | instid1(VALU_DEP_1)
	v_cmp_ge_f32_e64 s0, 0, v17
	v_cndmask_b32_e64 v14, v14, v15, s0
	s_delay_alu instid0(VALU_DEP_3) | instskip(NEXT) | instid1(VALU_DEP_1)
	v_cmp_lt_f32_e64 s0, 0, v18
	v_cndmask_b32_e64 v14, v14, v16, s0
	s_delay_alu instid0(VALU_DEP_1) | instskip(NEXT) | instid1(VALU_DEP_1)
	v_mul_f32_e32 v15, 0x37800000, v14
	v_cndmask_b32_e32 v14, v14, v15, vcc_lo
	v_cmp_class_f32_e64 vcc_lo, v13, 0x260
	s_delay_alu instid0(VALU_DEP_2)
	v_cndmask_b32_e32 v13, v14, v13, vcc_lo
	s_branch .LBB0_6
.LBB0_11:
	s_endpgm
	.section	.rodata,"a",@progbits
	.p2align	6, 0x0
	.amdhsa_kernel _Z4adamIffEvPT_S1_S1_PKT0_fffffim10adamMode_tf
		.amdhsa_group_segment_fixed_size 0
		.amdhsa_private_segment_fixed_size 0
		.amdhsa_kernarg_size 328
		.amdhsa_user_sgpr_count 2
		.amdhsa_user_sgpr_dispatch_ptr 0
		.amdhsa_user_sgpr_queue_ptr 0
		.amdhsa_user_sgpr_kernarg_segment_ptr 1
		.amdhsa_user_sgpr_dispatch_id 0
		.amdhsa_user_sgpr_kernarg_preload_length 0
		.amdhsa_user_sgpr_kernarg_preload_offset 0
		.amdhsa_user_sgpr_private_segment_size 0
		.amdhsa_wavefront_size32 1
		.amdhsa_uses_dynamic_stack 0
		.amdhsa_enable_private_segment 0
		.amdhsa_system_sgpr_workgroup_id_x 1
		.amdhsa_system_sgpr_workgroup_id_y 0
		.amdhsa_system_sgpr_workgroup_id_z 0
		.amdhsa_system_sgpr_workgroup_info 0
		.amdhsa_system_vgpr_workitem_id 0
		.amdhsa_next_free_vgpr 30
		.amdhsa_next_free_sgpr 43
		.amdhsa_named_barrier_count 0
		.amdhsa_reserve_vcc 1
		.amdhsa_float_round_mode_32 0
		.amdhsa_float_round_mode_16_64 0
		.amdhsa_float_denorm_mode_32 3
		.amdhsa_float_denorm_mode_16_64 3
		.amdhsa_fp16_overflow 0
		.amdhsa_memory_ordered 1
		.amdhsa_forward_progress 1
		.amdhsa_inst_pref_size 32
		.amdhsa_round_robin_scheduling 0
		.amdhsa_exception_fp_ieee_invalid_op 0
		.amdhsa_exception_fp_denorm_src 0
		.amdhsa_exception_fp_ieee_div_zero 0
		.amdhsa_exception_fp_ieee_overflow 0
		.amdhsa_exception_fp_ieee_underflow 0
		.amdhsa_exception_fp_ieee_inexact 0
		.amdhsa_exception_int_div_zero 0
	.end_amdhsa_kernel
	.section	.text._Z4adamIffEvPT_S1_S1_PKT0_fffffim10adamMode_tf,"axG",@progbits,_Z4adamIffEvPT_S1_S1_PKT0_fffffim10adamMode_tf,comdat
.Lfunc_end0:
	.size	_Z4adamIffEvPT_S1_S1_PKT0_fffffim10adamMode_tf, .Lfunc_end0-_Z4adamIffEvPT_S1_S1_PKT0_fffffim10adamMode_tf
                                        ; -- End function
	.set _Z4adamIffEvPT_S1_S1_PKT0_fffffim10adamMode_tf.num_vgpr, 30
	.set _Z4adamIffEvPT_S1_S1_PKT0_fffffim10adamMode_tf.num_agpr, 0
	.set _Z4adamIffEvPT_S1_S1_PKT0_fffffim10adamMode_tf.numbered_sgpr, 43
	.set _Z4adamIffEvPT_S1_S1_PKT0_fffffim10adamMode_tf.num_named_barrier, 0
	.set _Z4adamIffEvPT_S1_S1_PKT0_fffffim10adamMode_tf.private_seg_size, 0
	.set _Z4adamIffEvPT_S1_S1_PKT0_fffffim10adamMode_tf.uses_vcc, 1
	.set _Z4adamIffEvPT_S1_S1_PKT0_fffffim10adamMode_tf.uses_flat_scratch, 0
	.set _Z4adamIffEvPT_S1_S1_PKT0_fffffim10adamMode_tf.has_dyn_sized_stack, 0
	.set _Z4adamIffEvPT_S1_S1_PKT0_fffffim10adamMode_tf.has_recursion, 0
	.set _Z4adamIffEvPT_S1_S1_PKT0_fffffim10adamMode_tf.has_indirect_call, 0
	.section	.AMDGPU.csdata,"",@progbits
; Kernel info:
; codeLenInByte = 3972
; TotalNumSgprs: 45
; NumVgprs: 30
; ScratchSize: 0
; MemoryBound: 0
; FloatMode: 240
; IeeeMode: 1
; LDSByteSize: 0 bytes/workgroup (compile time only)
; SGPRBlocks: 0
; VGPRBlocks: 1
; NumSGPRsForWavesPerEU: 45
; NumVGPRsForWavesPerEU: 30
; NamedBarCnt: 0
; Occupancy: 16
; WaveLimiterHint : 0
; COMPUTE_PGM_RSRC2:SCRATCH_EN: 0
; COMPUTE_PGM_RSRC2:USER_SGPR: 2
; COMPUTE_PGM_RSRC2:TRAP_HANDLER: 0
; COMPUTE_PGM_RSRC2:TGID_X_EN: 1
; COMPUTE_PGM_RSRC2:TGID_Y_EN: 0
; COMPUTE_PGM_RSRC2:TGID_Z_EN: 0
; COMPUTE_PGM_RSRC2:TIDIG_COMP_CNT: 0
	.section	.AMDGPU.gpr_maximums,"",@progbits
	.set amdgpu.max_num_vgpr, 0
	.set amdgpu.max_num_agpr, 0
	.set amdgpu.max_num_sgpr, 0
	.section	.AMDGPU.csdata,"",@progbits
	.type	__hip_cuid_71fe418e2561b5f2,@object ; @__hip_cuid_71fe418e2561b5f2
	.section	.bss,"aw",@nobits
	.globl	__hip_cuid_71fe418e2561b5f2
__hip_cuid_71fe418e2561b5f2:
	.byte	0                               ; 0x0
	.size	__hip_cuid_71fe418e2561b5f2, 1

	.ident	"AMD clang version 22.0.0git (https://github.com/RadeonOpenCompute/llvm-project roc-7.2.4 26084 f58b06dce1f9c15707c5f808fd002e18c2accf7e)"
	.section	".note.GNU-stack","",@progbits
	.addrsig
	.addrsig_sym __hip_cuid_71fe418e2561b5f2
	.amdgpu_metadata
---
amdhsa.kernels:
  - .args:
      - .address_space:  global
        .offset:         0
        .size:           8
        .value_kind:     global_buffer
      - .address_space:  global
        .offset:         8
        .size:           8
        .value_kind:     global_buffer
      - .address_space:  global
        .offset:         16
        .size:           8
        .value_kind:     global_buffer
      - .actual_access:  read_only
        .address_space:  global
        .offset:         24
        .size:           8
        .value_kind:     global_buffer
      - .offset:         32
        .size:           4
        .value_kind:     by_value
      - .offset:         36
        .size:           4
        .value_kind:     by_value
      - .offset:         40
        .size:           4
        .value_kind:     by_value
      - .offset:         44
        .size:           4
        .value_kind:     by_value
      - .offset:         48
        .size:           4
        .value_kind:     by_value
      - .offset:         52
        .size:           4
        .value_kind:     by_value
      - .offset:         56
        .size:           8
        .value_kind:     by_value
      - .offset:         64
        .size:           4
        .value_kind:     by_value
      - .offset:         68
        .size:           4
        .value_kind:     by_value
      - .offset:         72
        .size:           4
        .value_kind:     hidden_block_count_x
      - .offset:         76
        .size:           4
        .value_kind:     hidden_block_count_y
      - .offset:         80
        .size:           4
        .value_kind:     hidden_block_count_z
      - .offset:         84
        .size:           2
        .value_kind:     hidden_group_size_x
      - .offset:         86
        .size:           2
        .value_kind:     hidden_group_size_y
      - .offset:         88
        .size:           2
        .value_kind:     hidden_group_size_z
      - .offset:         90
        .size:           2
        .value_kind:     hidden_remainder_x
      - .offset:         92
        .size:           2
        .value_kind:     hidden_remainder_y
      - .offset:         94
        .size:           2
        .value_kind:     hidden_remainder_z
      - .offset:         112
        .size:           8
        .value_kind:     hidden_global_offset_x
      - .offset:         120
        .size:           8
        .value_kind:     hidden_global_offset_y
      - .offset:         128
        .size:           8
        .value_kind:     hidden_global_offset_z
      - .offset:         136
        .size:           2
        .value_kind:     hidden_grid_dims
    .group_segment_fixed_size: 0
    .kernarg_segment_align: 8
    .kernarg_segment_size: 328
    .language:       OpenCL C
    .language_version:
      - 2
      - 0
    .max_flat_workgroup_size: 1024
    .name:           _Z4adamIffEvPT_S1_S1_PKT0_fffffim10adamMode_tf
    .private_segment_fixed_size: 0
    .sgpr_count:     45
    .sgpr_spill_count: 0
    .symbol:         _Z4adamIffEvPT_S1_S1_PKT0_fffffim10adamMode_tf.kd
    .uniform_work_group_size: 1
    .uses_dynamic_stack: false
    .vgpr_count:     30
    .vgpr_spill_count: 0
    .wavefront_size: 32
amdhsa.target:   amdgcn-amd-amdhsa--gfx1250
amdhsa.version:
  - 1
  - 2
...

	.end_amdgpu_metadata
